;; amdgpu-corpus repo=ROCm/rocFFT kind=compiled arch=gfx906 opt=O3
	.text
	.amdgcn_target "amdgcn-amd-amdhsa--gfx906"
	.amdhsa_code_object_version 6
	.protected	fft_rtc_fwd_len1536_factors_16_16_6_wgs_256_tpt_256_halfLds_dp_ip_CI_unitstride_sbrr_dirReg ; -- Begin function fft_rtc_fwd_len1536_factors_16_16_6_wgs_256_tpt_256_halfLds_dp_ip_CI_unitstride_sbrr_dirReg
	.globl	fft_rtc_fwd_len1536_factors_16_16_6_wgs_256_tpt_256_halfLds_dp_ip_CI_unitstride_sbrr_dirReg
	.p2align	8
	.type	fft_rtc_fwd_len1536_factors_16_16_6_wgs_256_tpt_256_halfLds_dp_ip_CI_unitstride_sbrr_dirReg,@function
fft_rtc_fwd_len1536_factors_16_16_6_wgs_256_tpt_256_halfLds_dp_ip_CI_unitstride_sbrr_dirReg: ; @fft_rtc_fwd_len1536_factors_16_16_6_wgs_256_tpt_256_halfLds_dp_ip_CI_unitstride_sbrr_dirReg
; %bb.0:
	s_load_dwordx4 s[8:11], s[4:5], 0x0
	s_load_dwordx2 s[2:3], s[4:5], 0x50
	s_load_dwordx2 s[12:13], s[4:5], 0x18
	v_mov_b32_e32 v3, 0
	v_mov_b32_e32 v1, 0
	s_waitcnt lgkmcnt(0)
	v_cmp_lt_u64_e64 s[0:1], s[10:11], 2
	v_mov_b32_e32 v5, s6
	v_mov_b32_e32 v6, v3
	s_and_b64 vcc, exec, s[0:1]
	v_mov_b32_e32 v2, 0
	s_cbranch_vccnz .LBB0_8
; %bb.1:
	s_load_dwordx2 s[0:1], s[4:5], 0x10
	s_add_u32 s6, s12, 8
	s_addc_u32 s7, s13, 0
	v_mov_b32_e32 v1, 0
	v_mov_b32_e32 v2, 0
	s_waitcnt lgkmcnt(0)
	s_add_u32 s14, s0, 8
	s_addc_u32 s15, s1, 0
	s_mov_b64 s[16:17], 1
.LBB0_2:                                ; =>This Inner Loop Header: Depth=1
	s_load_dwordx2 s[18:19], s[14:15], 0x0
                                        ; implicit-def: $vgpr7_vgpr8
	s_waitcnt lgkmcnt(0)
	v_or_b32_e32 v4, s19, v6
	v_cmp_ne_u64_e32 vcc, 0, v[3:4]
	s_and_saveexec_b64 s[0:1], vcc
	s_xor_b64 s[20:21], exec, s[0:1]
	s_cbranch_execz .LBB0_4
; %bb.3:                                ;   in Loop: Header=BB0_2 Depth=1
	v_cvt_f32_u32_e32 v4, s18
	v_cvt_f32_u32_e32 v7, s19
	s_sub_u32 s0, 0, s18
	s_subb_u32 s1, 0, s19
	v_mac_f32_e32 v4, 0x4f800000, v7
	v_rcp_f32_e32 v4, v4
	v_mul_f32_e32 v4, 0x5f7ffffc, v4
	v_mul_f32_e32 v7, 0x2f800000, v4
	v_trunc_f32_e32 v7, v7
	v_mac_f32_e32 v4, 0xcf800000, v7
	v_cvt_u32_f32_e32 v7, v7
	v_cvt_u32_f32_e32 v4, v4
	v_mul_lo_u32 v8, s0, v7
	v_mul_hi_u32 v9, s0, v4
	v_mul_lo_u32 v11, s1, v4
	v_mul_lo_u32 v10, s0, v4
	v_add_u32_e32 v8, v9, v8
	v_add_u32_e32 v8, v8, v11
	v_mul_hi_u32 v9, v4, v10
	v_mul_lo_u32 v11, v4, v8
	v_mul_hi_u32 v13, v4, v8
	v_mul_hi_u32 v12, v7, v10
	v_mul_lo_u32 v10, v7, v10
	v_mul_hi_u32 v14, v7, v8
	v_add_co_u32_e32 v9, vcc, v9, v11
	v_addc_co_u32_e32 v11, vcc, 0, v13, vcc
	v_mul_lo_u32 v8, v7, v8
	v_add_co_u32_e32 v9, vcc, v9, v10
	v_addc_co_u32_e32 v9, vcc, v11, v12, vcc
	v_addc_co_u32_e32 v10, vcc, 0, v14, vcc
	v_add_co_u32_e32 v8, vcc, v9, v8
	v_addc_co_u32_e32 v9, vcc, 0, v10, vcc
	v_add_co_u32_e32 v4, vcc, v4, v8
	v_addc_co_u32_e32 v7, vcc, v7, v9, vcc
	v_mul_lo_u32 v8, s0, v7
	v_mul_hi_u32 v9, s0, v4
	v_mul_lo_u32 v10, s1, v4
	v_mul_lo_u32 v11, s0, v4
	v_add_u32_e32 v8, v9, v8
	v_add_u32_e32 v8, v8, v10
	v_mul_lo_u32 v12, v4, v8
	v_mul_hi_u32 v13, v4, v11
	v_mul_hi_u32 v14, v4, v8
	;; [unrolled: 1-line block ×3, first 2 shown]
	v_mul_lo_u32 v11, v7, v11
	v_mul_hi_u32 v9, v7, v8
	v_add_co_u32_e32 v12, vcc, v13, v12
	v_addc_co_u32_e32 v13, vcc, 0, v14, vcc
	v_mul_lo_u32 v8, v7, v8
	v_add_co_u32_e32 v11, vcc, v12, v11
	v_addc_co_u32_e32 v10, vcc, v13, v10, vcc
	v_addc_co_u32_e32 v9, vcc, 0, v9, vcc
	v_add_co_u32_e32 v8, vcc, v10, v8
	v_addc_co_u32_e32 v9, vcc, 0, v9, vcc
	v_add_co_u32_e32 v4, vcc, v4, v8
	v_addc_co_u32_e32 v9, vcc, v7, v9, vcc
	v_mad_u64_u32 v[7:8], s[0:1], v5, v9, 0
	v_mul_hi_u32 v10, v5, v4
	v_add_co_u32_e32 v11, vcc, v10, v7
	v_addc_co_u32_e32 v12, vcc, 0, v8, vcc
	v_mad_u64_u32 v[7:8], s[0:1], v6, v4, 0
	v_mad_u64_u32 v[9:10], s[0:1], v6, v9, 0
	v_add_co_u32_e32 v4, vcc, v11, v7
	v_addc_co_u32_e32 v4, vcc, v12, v8, vcc
	v_addc_co_u32_e32 v7, vcc, 0, v10, vcc
	v_add_co_u32_e32 v4, vcc, v4, v9
	v_addc_co_u32_e32 v9, vcc, 0, v7, vcc
	v_mul_lo_u32 v10, s19, v4
	v_mul_lo_u32 v11, s18, v9
	v_mad_u64_u32 v[7:8], s[0:1], s18, v4, 0
	v_add3_u32 v8, v8, v11, v10
	v_sub_u32_e32 v10, v6, v8
	v_mov_b32_e32 v11, s19
	v_sub_co_u32_e32 v7, vcc, v5, v7
	v_subb_co_u32_e64 v10, s[0:1], v10, v11, vcc
	v_subrev_co_u32_e64 v11, s[0:1], s18, v7
	v_subbrev_co_u32_e64 v10, s[0:1], 0, v10, s[0:1]
	v_cmp_le_u32_e64 s[0:1], s19, v10
	v_cndmask_b32_e64 v12, 0, -1, s[0:1]
	v_cmp_le_u32_e64 s[0:1], s18, v11
	v_cndmask_b32_e64 v11, 0, -1, s[0:1]
	v_cmp_eq_u32_e64 s[0:1], s19, v10
	v_cndmask_b32_e64 v10, v12, v11, s[0:1]
	v_add_co_u32_e64 v11, s[0:1], 2, v4
	v_addc_co_u32_e64 v12, s[0:1], 0, v9, s[0:1]
	v_add_co_u32_e64 v13, s[0:1], 1, v4
	v_addc_co_u32_e64 v14, s[0:1], 0, v9, s[0:1]
	v_subb_co_u32_e32 v8, vcc, v6, v8, vcc
	v_cmp_ne_u32_e64 s[0:1], 0, v10
	v_cmp_le_u32_e32 vcc, s19, v8
	v_cndmask_b32_e64 v10, v14, v12, s[0:1]
	v_cndmask_b32_e64 v12, 0, -1, vcc
	v_cmp_le_u32_e32 vcc, s18, v7
	v_cndmask_b32_e64 v7, 0, -1, vcc
	v_cmp_eq_u32_e32 vcc, s19, v8
	v_cndmask_b32_e32 v7, v12, v7, vcc
	v_cmp_ne_u32_e32 vcc, 0, v7
	v_cndmask_b32_e64 v7, v13, v11, s[0:1]
	v_cndmask_b32_e32 v8, v9, v10, vcc
	v_cndmask_b32_e32 v7, v4, v7, vcc
.LBB0_4:                                ;   in Loop: Header=BB0_2 Depth=1
	s_andn2_saveexec_b64 s[0:1], s[20:21]
	s_cbranch_execz .LBB0_6
; %bb.5:                                ;   in Loop: Header=BB0_2 Depth=1
	v_cvt_f32_u32_e32 v4, s18
	s_sub_i32 s20, 0, s18
	v_rcp_iflag_f32_e32 v4, v4
	v_mul_f32_e32 v4, 0x4f7ffffe, v4
	v_cvt_u32_f32_e32 v4, v4
	v_mul_lo_u32 v7, s20, v4
	v_mul_hi_u32 v7, v4, v7
	v_add_u32_e32 v4, v4, v7
	v_mul_hi_u32 v4, v5, v4
	v_mul_lo_u32 v7, v4, s18
	v_add_u32_e32 v8, 1, v4
	v_sub_u32_e32 v7, v5, v7
	v_subrev_u32_e32 v9, s18, v7
	v_cmp_le_u32_e32 vcc, s18, v7
	v_cndmask_b32_e32 v7, v7, v9, vcc
	v_cndmask_b32_e32 v4, v4, v8, vcc
	v_add_u32_e32 v8, 1, v4
	v_cmp_le_u32_e32 vcc, s18, v7
	v_cndmask_b32_e32 v7, v4, v8, vcc
	v_mov_b32_e32 v8, v3
.LBB0_6:                                ;   in Loop: Header=BB0_2 Depth=1
	s_or_b64 exec, exec, s[0:1]
	v_mul_lo_u32 v4, v8, s18
	v_mul_lo_u32 v11, v7, s19
	v_mad_u64_u32 v[9:10], s[0:1], v7, s18, 0
	s_load_dwordx2 s[0:1], s[6:7], 0x0
	s_add_u32 s16, s16, 1
	v_add3_u32 v4, v10, v11, v4
	v_sub_co_u32_e32 v5, vcc, v5, v9
	v_subb_co_u32_e32 v4, vcc, v6, v4, vcc
	s_waitcnt lgkmcnt(0)
	v_mul_lo_u32 v4, s0, v4
	v_mul_lo_u32 v6, s1, v5
	v_mad_u64_u32 v[1:2], s[0:1], s0, v5, v[1:2]
	s_addc_u32 s17, s17, 0
	s_add_u32 s6, s6, 8
	v_add3_u32 v2, v6, v2, v4
	v_mov_b32_e32 v4, s10
	v_mov_b32_e32 v5, s11
	s_addc_u32 s7, s7, 0
	v_cmp_ge_u64_e32 vcc, s[16:17], v[4:5]
	s_add_u32 s14, s14, 8
	s_addc_u32 s15, s15, 0
	s_cbranch_vccnz .LBB0_9
; %bb.7:                                ;   in Loop: Header=BB0_2 Depth=1
	v_mov_b32_e32 v5, v7
	v_mov_b32_e32 v6, v8
	s_branch .LBB0_2
.LBB0_8:
	v_mov_b32_e32 v8, v6
	v_mov_b32_e32 v7, v5
.LBB0_9:
	s_lshl_b64 s[0:1], s[10:11], 3
	s_add_u32 s0, s12, s0
	s_addc_u32 s1, s13, s1
	s_load_dwordx2 s[6:7], s[0:1], 0x0
	s_load_dwordx2 s[10:11], s[4:5], 0x20
	v_mov_b32_e32 v97, 0
                                        ; implicit-def: $vgpr9_vgpr10
                                        ; implicit-def: $vgpr39_vgpr40
                                        ; implicit-def: $vgpr27_vgpr28
                                        ; implicit-def: $vgpr19_vgpr20
                                        ; implicit-def: $vgpr35_vgpr36
                                        ; implicit-def: $vgpr23_vgpr24
                                        ; implicit-def: $vgpr31_vgpr32
                                        ; implicit-def: $vgpr63_vgpr64
                                        ; implicit-def: $vgpr43_vgpr44
                                        ; implicit-def: $vgpr67_vgpr68
                                        ; implicit-def: $vgpr47_vgpr48
                                        ; implicit-def: $vgpr51_vgpr52
                                        ; implicit-def: $vgpr59_vgpr60
                                        ; implicit-def: $vgpr55_vgpr56
                                        ; implicit-def: $vgpr13_vgpr14
                                        ; implicit-def: $vgpr5_vgpr6
	s_waitcnt lgkmcnt(0)
	v_mul_lo_u32 v3, s6, v8
	v_mul_lo_u32 v4, s7, v7
	v_mad_u64_u32 v[69:70], s[0:1], s6, v7, v[1:2]
	v_cmp_gt_u64_e32 vcc, s[10:11], v[7:8]
	v_add3_u32 v70, v4, v70, v3
	s_and_saveexec_b64 s[4:5], vcc
	s_cbranch_execz .LBB0_13
; %bb.10:
	s_movk_i32 s0, 0x60
	v_cmp_gt_u32_e64 s[0:1], s0, v0
                                        ; implicit-def: $vgpr3_vgpr4
                                        ; implicit-def: $vgpr11_vgpr12
                                        ; implicit-def: $vgpr53_vgpr54
                                        ; implicit-def: $vgpr57_vgpr58
                                        ; implicit-def: $vgpr49_vgpr50
                                        ; implicit-def: $vgpr45_vgpr46
                                        ; implicit-def: $vgpr65_vgpr66
                                        ; implicit-def: $vgpr41_vgpr42
                                        ; implicit-def: $vgpr61_vgpr62
                                        ; implicit-def: $vgpr29_vgpr30
                                        ; implicit-def: $vgpr21_vgpr22
                                        ; implicit-def: $vgpr33_vgpr34
                                        ; implicit-def: $vgpr17_vgpr18
                                        ; implicit-def: $vgpr25_vgpr26
                                        ; implicit-def: $vgpr37_vgpr38
                                        ; implicit-def: $vgpr7_vgpr8
	s_and_saveexec_b64 s[6:7], s[0:1]
	s_cbranch_execz .LBB0_12
; %bb.11:
	v_lshlrev_b64 v[1:2], 4, v[69:70]
	v_mov_b32_e32 v3, s3
	v_add_co_u32_e64 v11, s[0:1], s2, v1
	v_addc_co_u32_e64 v12, s[0:1], v3, v2, s[0:1]
	v_lshlrev_b32_e32 v13, 4, v0
	v_add_co_u32_e64 v1, s[0:1], v11, v13
	v_addc_co_u32_e64 v2, s[0:1], 0, v12, s[0:1]
	s_movk_i32 s0, 0x1000
	v_add_co_u32_e64 v15, s[0:1], s0, v1
	v_addc_co_u32_e64 v16, s[0:1], 0, v2, s[0:1]
	v_or_b32_e32 v14, 0x1800, v13
	v_add_co_u32_e64 v71, s[0:1], v11, v14
	v_addc_co_u32_e64 v72, s[0:1], 0, v12, s[0:1]
	s_movk_i32 s0, 0x2000
	v_add_co_u32_e64 v73, s[0:1], s0, v1
	v_mov_b32_e32 v14, 0x3000
	v_addc_co_u32_e64 v74, s[0:1], 0, v2, s[0:1]
	v_lshl_or_b32 v14, v0, 4, v14
	v_add_co_u32_e64 v75, s[0:1], v11, v14
	s_movk_i32 s10, 0x3000
	v_addc_co_u32_e64 v76, s[0:1], 0, v12, s[0:1]
	v_add_co_u32_e64 v77, s[0:1], s10, v1
	v_addc_co_u32_e64 v78, s[0:1], 0, v2, s[0:1]
	s_movk_i32 s0, 0x4000
	v_add_co_u32_e64 v79, s[0:1], s0, v1
	v_addc_co_u32_e64 v80, s[0:1], 0, v2, s[0:1]
	v_or_b32_e32 v13, 0x4800, v13
	v_add_co_u32_e64 v81, s[0:1], v11, v13
	v_addc_co_u32_e64 v82, s[0:1], 0, v12, s[0:1]
	s_movk_i32 s0, 0x5000
	v_add_co_u32_e64 v83, s[0:1], s0, v1
	global_load_dwordx4 v[3:6], v[1:2], off
	global_load_dwordx4 v[7:10], v[1:2], off offset:1536
	v_addc_co_u32_e64 v84, s[0:1], 0, v2, s[0:1]
	global_load_dwordx4 v[37:40], v[1:2], off offset:3072
	global_load_dwordx4 v[25:28], v[15:16], off offset:512
	global_load_dwordx4 v[17:20], v[71:72], off
	global_load_dwordx4 v[33:36], v[15:16], off offset:3584
	global_load_dwordx4 v[11:14], v[73:74], off offset:1024
	global_load_dwordx4 v[21:24], v[73:74], off offset:2560
	global_load_dwordx4 v[29:32], v[75:76], off
	global_load_dwordx4 v[53:56], v[77:78], off offset:1536
	global_load_dwordx4 v[61:64], v[77:78], off offset:3072
	global_load_dwordx4 v[41:44], v[79:80], off offset:512
	global_load_dwordx4 v[65:68], v[81:82], off
	global_load_dwordx4 v[45:48], v[79:80], off offset:3584
	global_load_dwordx4 v[49:52], v[83:84], off offset:1024
	global_load_dwordx4 v[57:60], v[83:84], off offset:2560
.LBB0_12:
	s_or_b64 exec, exec, s[6:7]
	v_mov_b32_e32 v97, v0
.LBB0_13:
	s_or_b64 exec, exec, s[4:5]
	s_waitcnt vmcnt(5)
	v_add_f64 v[1:2], v[37:38], -v[61:62]
	v_add_f64 v[15:16], v[39:40], -v[63:64]
	;; [unrolled: 1-line block ×3, first 2 shown]
	s_waitcnt vmcnt(4)
	v_add_f64 v[43:44], v[27:28], -v[43:44]
	s_waitcnt vmcnt(0)
	v_add_f64 v[57:58], v[21:22], -v[57:58]
	v_add_f64 v[45:46], v[33:34], -v[45:46]
	;; [unrolled: 1-line block ×5, first 2 shown]
	v_fma_f64 v[65:66], v[37:38], 2.0, -v[1:2]
	v_fma_f64 v[37:38], v[39:40], 2.0, -v[15:16]
	v_add_f64 v[39:40], v[25:26], -v[41:42]
	v_add_f64 v[41:42], v[23:24], -v[59:60]
	;; [unrolled: 1-line block ×4, first 2 shown]
	v_add_f64 v[81:82], v[43:44], v[57:58]
	v_add_f64 v[87:88], v[45:46], v[55:56]
	v_add_f64 v[29:30], v[3:4], -v[29:30]
	v_add_f64 v[63:64], v[19:20], -v[67:68]
	v_fma_f64 v[7:8], v[7:8], 2.0, -v[53:54]
	v_add_f64 v[67:68], v[53:54], -v[47:48]
	v_add_f64 v[71:72], v[39:40], -v[41:42]
	v_fma_f64 v[33:34], v[33:34], 2.0, -v[45:46]
	v_fma_f64 v[25:26], v[25:26], 2.0, -v[39:40]
	;; [unrolled: 1-line block ×7, first 2 shown]
	v_add_f64 v[73:74], v[1:2], -v[59:60]
	v_fma_f64 v[11:12], v[11:12], 2.0, -v[49:50]
	v_fma_f64 v[21:22], v[21:22], 2.0, -v[57:58]
	s_mov_b32 s4, 0x667f3bcd
	s_mov_b32 s5, 0x3fe6a09e
	;; [unrolled: 1-line block ×4, first 2 shown]
	v_fma_f64 v[9:10], v[9:10], 2.0, -v[55:56]
	v_fma_f64 v[53:54], v[53:54], 2.0, -v[67:68]
	;; [unrolled: 1-line block ×3, first 2 shown]
	v_add_f64 v[55:56], v[29:30], -v[63:64]
	v_fma_f64 v[23:24], v[23:24], 2.0, -v[41:42]
	v_fma_f64 v[41:42], v[43:44], s[0:1], v[83:84]
	v_add_f64 v[17:18], v[3:4], -v[17:18]
	v_fma_f64 v[77:78], v[1:2], 2.0, -v[73:74]
	v_add_f64 v[51:52], v[65:66], -v[11:12]
	v_add_f64 v[1:2], v[7:8], -v[33:34]
	;; [unrolled: 1-line block ×3, first 2 shown]
	v_fma_f64 v[45:46], v[39:40], s[0:1], v[53:54]
	v_fma_f64 v[29:30], v[29:30], 2.0, -v[55:56]
	v_add_f64 v[75:76], v[15:16], v[49:50]
	v_fma_f64 v[13:14], v[13:14], 2.0, -v[59:60]
	v_fma_f64 v[33:34], v[71:72], s[4:5], v[67:68]
	v_fma_f64 v[3:4], v[3:4], 2.0, -v[17:18]
	v_fma_f64 v[49:50], v[65:66], 2.0, -v[51:52]
	;; [unrolled: 1-line block ×4, first 2 shown]
	v_fma_f64 v[39:40], v[39:40], s[4:5], v[41:42]
	v_fma_f64 v[41:42], v[73:74], s[4:5], v[55:56]
	v_fma_f64 v[35:36], v[35:36], 2.0, -v[47:48]
	v_fma_f64 v[79:80], v[15:16], 2.0, -v[75:76]
	v_fma_f64 v[15:16], v[77:78], s[0:1], v[29:30]
	v_fma_f64 v[21:22], v[43:44], s[0:1], v[45:46]
	v_fma_f64 v[43:44], v[81:82], s[4:5], v[87:88]
	v_fma_f64 v[47:48], v[81:82], s[0:1], v[33:34]
	v_add_f64 v[33:34], v[3:4], -v[49:50]
	v_add_f64 v[45:46], v[7:8], -v[25:26]
	;; [unrolled: 1-line block ×4, first 2 shown]
	v_fma_f64 v[93:94], v[75:76], s[0:1], v[41:42]
	v_fma_f64 v[91:92], v[79:80], s[0:1], v[15:16]
	;; [unrolled: 1-line block ×3, first 2 shown]
	s_mov_b32 s6, 0xa6aea964
	v_fma_f64 v[41:42], v[3:4], 2.0, -v[33:34]
	v_fma_f64 v[3:4], v[7:8], 2.0, -v[45:46]
	v_add_f64 v[7:8], v[9:10], -v[35:36]
	v_add_f64 v[81:82], v[1:2], -v[13:14]
	v_fma_f64 v[35:36], v[55:56], 2.0, -v[93:94]
	v_fma_f64 v[55:56], v[67:68], 2.0, -v[47:48]
	v_add_f64 v[95:96], v[17:18], -v[65:66]
	s_mov_b32 s7, 0xbfd87de2
	s_mov_b32 s11, 0x3fd87de2
	;; [unrolled: 1-line block ×3, first 2 shown]
	v_fma_f64 v[29:30], v[29:30], 2.0, -v[91:92]
	v_fma_f64 v[57:58], v[53:54], 2.0, -v[21:22]
	v_fma_f64 v[85:86], v[1:2], 2.0, -v[81:82]
	v_fma_f64 v[59:60], v[87:88], 2.0, -v[49:50]
	v_fma_f64 v[1:2], v[55:56], s[6:7], v[35:36]
	v_fma_f64 v[67:68], v[9:10], 2.0, -v[7:8]
	v_fma_f64 v[9:10], v[21:22], s[10:11], v[91:92]
	v_fma_f64 v[53:54], v[83:84], 2.0, -v[39:40]
	v_fma_f64 v[43:44], v[17:18], 2.0, -v[95:96]
	v_add_f64 v[83:84], v[11:12], v[7:8]
	v_fma_f64 v[11:12], v[27:28], 2.0, -v[13:14]
	s_mov_b32 s11, 0xbfed906b
	s_mov_b32 s10, 0xcf328d46
	v_fma_f64 v[15:16], v[57:58], s[10:11], v[29:30]
	v_fma_f64 v[17:18], v[59:60], s[10:11], v[1:2]
	;; [unrolled: 1-line block ×3, first 2 shown]
	s_mov_b32 s11, 0x3fed906b
	v_fma_f64 v[89:90], v[7:8], 2.0, -v[83:84]
	v_fma_f64 v[7:8], v[85:86], s[0:1], v[43:44]
	v_add_f64 v[71:72], v[67:68], -v[11:12]
	v_fma_f64 v[9:10], v[81:82], s[4:5], v[95:96]
	v_fma_f64 v[25:26], v[47:48], s[10:11], v[93:94]
	v_add_f64 v[1:2], v[41:42], -v[3:4]
	v_fma_f64 v[3:4], v[53:54], s[6:7], v[15:16]
	v_lshl_add_u32 v98, v0, 7, 0
	v_fma_f64 v[15:16], v[89:90], s[0:1], v[7:8]
	v_add_f64 v[11:12], v[33:34], -v[71:72]
	v_fma_f64 v[23:24], v[83:84], s[0:1], v[9:10]
	v_fma_f64 v[25:26], v[49:50], s[6:7], v[25:26]
	v_fma_f64 v[7:8], v[41:42], 2.0, -v[1:2]
	v_fma_f64 v[9:10], v[29:30], 2.0, -v[3:4]
	s_movk_i32 s0, 0x60
	v_cmp_gt_u32_e64 s[0:1], s0, v0
	v_fma_f64 v[41:42], v[43:44], 2.0, -v[15:16]
	v_fma_f64 v[43:44], v[35:36], 2.0, -v[17:18]
	;; [unrolled: 1-line block ×6, first 2 shown]
	s_and_saveexec_b64 s[6:7], s[0:1]
	s_cbranch_execz .LBB0_15
; %bb.14:
	ds_write_b128 v98, v[7:10]
	ds_write_b128 v98, v[41:44] offset:16
	ds_write_b128 v98, v[33:36] offset:32
	;; [unrolled: 1-line block ×7, first 2 shown]
.LBB0_15:
	s_or_b64 exec, exec, s[6:7]
	v_mul_f64 v[87:88], v[77:78], s[4:5]
	v_mul_f64 v[93:94], v[79:80], s[4:5]
	;; [unrolled: 1-line block ×8, first 2 shown]
	v_lshl_add_u32 v81, v0, 3, 0
	s_waitcnt lgkmcnt(0)
	s_barrier
	s_and_saveexec_b64 s[4:5], s[0:1]
	s_cbranch_execz .LBB0_17
; %bb.16:
	v_add_u32_e32 v1, 0x400, v81
	ds_read2_b64 v[41:44], v1 offset0:64 offset1:160
	v_add_u32_e32 v1, 0x800, v81
	ds_read2_b64 v[33:36], v1 offset0:128 offset1:224
	v_add_u32_e32 v1, 0x1000, v81
	ds_read2_b64 v[27:30], v1 offset0:64 offset1:160
	v_add_u32_e32 v1, 0x1800, v81
	ds_read2_b64 v[82:85], v1 offset0:96 offset1:192
	v_add_u32_e32 v1, 0x2000, v81
	ds_read2_b64 v[11:14], v1 offset0:32 offset1:128
	v_add_u32_e32 v1, 0x2400, v81
	ds_read2_b64 v[7:10], v81 offset1:96
	ds_read2_b64 v[99:102], v1 offset0:96 offset1:192
	ds_read_b64 v[1:2], v81 offset:6144
	ds_read_b64 v[25:26], v81 offset:11520
	s_waitcnt lgkmcnt(5)
	v_mov_b32_e32 v15, v84
	s_waitcnt lgkmcnt(4)
	v_mov_b32_e32 v18, v12
	v_mov_b32_e32 v17, v11
	;; [unrolled: 1-line block ×4, first 2 shown]
	s_waitcnt lgkmcnt(2)
	v_mov_b32_e32 v13, v99
	v_mov_b32_e32 v23, v101
	v_mov_b32_e32 v3, v82
	v_mov_b32_e32 v16, v85
	v_mov_b32_e32 v14, v100
	v_mov_b32_e32 v24, v102
	v_mov_b32_e32 v4, v83
.LBB0_17:
	s_or_b64 exec, exec, s[4:5]
	v_add_f64 v[31:32], v[5:6], -v[31:32]
	v_fma_f64 v[19:20], v[19:20], 2.0, -v[63:64]
	v_fma_f64 v[37:38], v[37:38], 2.0, -v[65:66]
	s_mov_b32 s5, 0xbfed906b
	s_mov_b32 s4, 0xcf328d46
	;; [unrolled: 1-line block ×5, first 2 shown]
	v_add_f64 v[61:62], v[61:62], v[31:32]
	v_fma_f64 v[5:6], v[5:6], 2.0, -v[31:32]
	s_mov_b32 s10, s6
	s_waitcnt lgkmcnt(0)
	s_barrier
	v_fma_f64 v[31:32], v[31:32], 2.0, -v[61:62]
	v_add_f64 v[19:20], v[5:6], -v[19:20]
	v_add_f64 v[63:64], v[61:62], v[95:96]
	v_add_f64 v[82:83], v[31:32], -v[93:94]
	v_add_f64 v[84:85], v[51:52], v[19:20]
	v_add_f64 v[89:90], v[91:92], v[63:64]
	v_fma_f64 v[5:6], v[5:6], 2.0, -v[19:20]
	v_fma_f64 v[51:52], v[67:68], 2.0, -v[71:72]
	v_add_f64 v[63:64], v[87:88], v[82:83]
	v_fma_f64 v[67:68], v[19:20], 2.0, -v[84:85]
	v_fma_f64 v[71:72], v[61:62], 2.0, -v[89:90]
	v_add_f64 v[65:66], v[5:6], -v[37:38]
	v_add_f64 v[19:20], v[79:80], v[84:85]
	v_fma_f64 v[31:32], v[31:32], 2.0, -v[63:64]
	v_add_f64 v[61:62], v[67:68], -v[77:78]
	v_fma_f64 v[59:60], v[59:60], s[10:11], v[71:72]
	v_fma_f64 v[5:6], v[5:6], 2.0, -v[65:66]
	v_fma_f64 v[39:40], v[39:40], s[6:7], v[63:64]
	v_fma_f64 v[77:78], v[53:54], s[4:5], v[31:32]
	s_mov_b32 s5, 0x3fed906b
	v_fma_f64 v[79:80], v[49:50], s[4:5], v[89:90]
	v_add_f64 v[49:50], v[45:46], v[65:66]
	v_add_f64 v[37:38], v[5:6], -v[51:52]
	v_add_f64 v[53:54], v[75:76], v[61:62]
	v_fma_f64 v[55:56], v[55:56], s[4:5], v[59:60]
	v_fma_f64 v[51:52], v[21:22], s[4:5], v[39:40]
	;; [unrolled: 1-line block ×3, first 2 shown]
	v_add_f64 v[45:46], v[73:74], v[19:20]
	v_fma_f64 v[47:48], v[47:48], s[6:7], v[79:80]
	v_fma_f64 v[61:62], v[65:66], 2.0, -v[49:50]
	v_fma_f64 v[19:20], v[5:6], 2.0, -v[37:38]
	;; [unrolled: 1-line block ×8, first 2 shown]
	s_and_saveexec_b64 s[4:5], s[0:1]
	s_cbranch_execz .LBB0_19
; %bb.18:
	ds_write_b128 v98, v[19:22]
	ds_write_b128 v98, v[65:68] offset:16
	ds_write_b128 v98, v[61:64] offset:32
	;; [unrolled: 1-line block ×7, first 2 shown]
.LBB0_19:
	s_or_b64 exec, exec, s[4:5]
	s_waitcnt lgkmcnt(0)
	s_barrier
	s_and_saveexec_b64 s[4:5], s[0:1]
	s_cbranch_execz .LBB0_21
; %bb.20:
	v_add_u32_e32 v5, 0x400, v81
	ds_read2_b64 v[65:68], v5 offset0:64 offset1:160
	v_add_u32_e32 v5, 0x800, v81
	ds_read2_b64 v[61:64], v5 offset0:128 offset1:224
	v_add_u32_e32 v5, 0x1000, v81
	ds_read2_b64 v[57:60], v5 offset0:64 offset1:160
	v_add_u32_e32 v5, 0x1800, v81
	ds_read2_b64 v[71:74], v5 offset0:96 offset1:192
	v_add_u32_e32 v5, 0x2000, v81
	ds_read2_b64 v[49:52], v5 offset0:32 offset1:128
	v_add_u32_e32 v5, 0x2400, v81
	ds_read2_b64 v[19:22], v81 offset1:96
	ds_read2_b64 v[75:78], v5 offset0:96 offset1:192
	ds_read_b64 v[37:38], v81 offset:6144
	ds_read_b64 v[47:48], v81 offset:11520
	s_waitcnt lgkmcnt(5)
	v_mov_b32_e32 v53, v73
	s_waitcnt lgkmcnt(4)
	v_mov_b32_e32 v56, v50
	v_mov_b32_e32 v55, v49
	;; [unrolled: 1-line block ×4, first 2 shown]
	s_waitcnt lgkmcnt(2)
	v_mov_b32_e32 v51, v75
	v_mov_b32_e32 v45, v77
	v_mov_b32_e32 v39, v71
	v_mov_b32_e32 v54, v74
	v_mov_b32_e32 v52, v76
	v_mov_b32_e32 v46, v78
	v_mov_b32_e32 v40, v72
.LBB0_21:
	s_or_b64 exec, exec, s[4:5]
	v_and_b32_e32 v75, 15, v0
	v_mul_u32_u24_e32 v5, 15, v75
	v_lshlrev_b32_e32 v80, 4, v5
	global_load_dwordx4 v[71:74], v80, s[8:9] offset:16
	global_load_dwordx4 v[76:79], v80, s[8:9] offset:32
	global_load_dwordx4 v[82:85], v80, s[8:9] offset:48
	global_load_dwordx4 v[86:89], v80, s[8:9] offset:64
	global_load_dwordx4 v[90:93], v80, s[8:9] offset:80
	global_load_dwordx4 v[98:101], v80, s[8:9]
	global_load_dwordx4 v[102:105], v80, s[8:9] offset:96
	global_load_dwordx4 v[106:109], v80, s[8:9] offset:128
	;; [unrolled: 1-line block ×6, first 2 shown]
	s_mov_b32 s4, 0x667f3bcd
	s_mov_b32 s5, 0x3fe6a09e
	;; [unrolled: 1-line block ×4, first 2 shown]
	global_load_dwordx4 v[126:129], v80, s[8:9] offset:224
	s_waitcnt vmcnt(12)
	v_mul_f64 v[5:6], v[65:66], v[73:74]
	v_mul_f64 v[31:32], v[41:42], v[73:74]
	s_waitcnt vmcnt(11)
	v_mul_f64 v[94:95], v[67:68], v[78:79]
	v_fma_f64 v[130:131], v[41:42], v[71:72], -v[5:6]
	v_fma_f64 v[65:66], v[65:66], v[71:72], v[31:32]
	global_load_dwordx4 v[71:74], v80, s[8:9] offset:208
	v_mul_f64 v[5:6], v[43:44], v[78:79]
	v_fma_f64 v[43:44], v[43:44], v[76:77], -v[94:95]
	s_waitcnt vmcnt(11)
	v_mul_f64 v[31:32], v[33:34], v[84:85]
	s_waitcnt vmcnt(10)
	v_mul_f64 v[78:79], v[35:36], v[88:89]
	;; [unrolled: 2-line block ×3, first 2 shown]
	v_fma_f64 v[67:68], v[67:68], v[76:77], v[5:6]
	v_mul_f64 v[5:6], v[61:62], v[84:85]
	v_mul_f64 v[76:77], v[63:64], v[88:89]
	v_fma_f64 v[41:42], v[61:62], v[82:83], v[31:32]
	v_mul_f64 v[61:62], v[57:58], v[92:93]
	v_fma_f64 v[63:64], v[63:64], v[86:87], v[78:79]
	v_mul_f64 v[78:79], v[59:60], v[104:105]
	v_mul_f64 v[84:85], v[9:10], v[100:101]
	;; [unrolled: 1-line block ×3, first 2 shown]
	v_fma_f64 v[5:6], v[33:34], v[82:83], -v[5:6]
	global_load_dwordx4 v[31:34], v80, s[8:9] offset:112
	v_fma_f64 v[35:36], v[35:36], v[86:87], -v[76:77]
	v_mul_f64 v[76:77], v[27:28], v[92:93]
	v_mul_f64 v[82:83], v[21:22], v[100:101]
	;; [unrolled: 1-line block ×3, first 2 shown]
	v_fma_f64 v[27:28], v[27:28], v[90:91], -v[61:62]
	v_mul_f64 v[61:62], v[3:4], v[108:109]
	v_fma_f64 v[29:30], v[29:30], v[102:103], -v[78:79]
	v_mul_f64 v[78:79], v[15:16], v[112:113]
	v_mul_f64 v[92:93], v[49:50], v[120:121]
	v_fma_f64 v[57:58], v[57:58], v[90:91], v[76:77]
	v_mul_f64 v[76:77], v[53:54], v[112:113]
	v_mul_f64 v[90:91], v[55:56], v[116:117]
	v_fma_f64 v[59:60], v[59:60], v[102:103], v[86:87]
	v_mul_f64 v[86:87], v[17:18], v[116:117]
	s_waitcnt vmcnt(3)
	v_mul_f64 v[100:101], v[51:52], v[124:125]
	v_fma_f64 v[9:10], v[9:10], v[98:99], -v[82:83]
	v_fma_f64 v[82:83], v[21:22], v[98:99], v[84:85]
	v_mul_f64 v[21:22], v[13:14], v[124:125]
	v_fma_f64 v[39:40], v[39:40], v[106:107], v[61:62]
	v_fma_f64 v[15:16], v[15:16], v[110:111], -v[76:77]
	v_fma_f64 v[3:4], v[3:4], v[106:107], -v[88:89]
	v_fma_f64 v[53:54], v[53:54], v[110:111], v[78:79]
	v_fma_f64 v[17:18], v[17:18], v[114:115], -v[90:91]
	v_fma_f64 v[55:56], v[55:56], v[114:115], v[86:87]
	;; [unrolled: 2-line block ×4, first 2 shown]
	v_add_f64 v[39:40], v[82:83], -v[39:40]
	s_waitcnt lgkmcnt(0)
	v_add_f64 v[17:18], v[43:44], -v[17:18]
	v_add_f64 v[55:56], v[67:68], -v[55:56]
	;; [unrolled: 1-line block ×7, first 2 shown]
	s_waitcnt vmcnt(0)
	s_barrier
	v_fma_f64 v[43:44], v[43:44], 2.0, -v[17:18]
	v_fma_f64 v[67:68], v[67:68], 2.0, -v[55:56]
	v_mul_f64 v[76:77], v[25:26], v[128:129]
	v_fma_f64 v[35:36], v[35:36], 2.0, -v[13:14]
	v_fma_f64 v[63:64], v[63:64], 2.0, -v[51:52]
	v_add_f64 v[13:14], v[39:40], v[13:14]
	v_mul_f64 v[84:85], v[45:46], v[73:74]
	v_mul_f64 v[61:62], v[23:24], v[73:74]
	;; [unrolled: 1-line block ×3, first 2 shown]
	v_fma_f64 v[47:48], v[47:48], v[126:127], v[76:77]
	v_fma_f64 v[76:77], v[39:40], 2.0, -v[13:14]
	v_fma_f64 v[78:79], v[23:24], v[71:72], -v[84:85]
	v_fma_f64 v[45:46], v[45:46], v[71:72], v[61:62]
	v_fma_f64 v[25:26], v[25:26], v[126:127], -v[73:74]
	v_add_f64 v[23:24], v[41:42], -v[49:50]
	v_add_f64 v[61:62], v[9:10], -v[3:4]
	v_fma_f64 v[3:4], v[130:131], 2.0, -v[11:12]
	v_add_f64 v[47:48], v[59:60], -v[47:48]
	v_add_f64 v[49:50], v[27:28], -v[78:79]
	;; [unrolled: 1-line block ×4, first 2 shown]
	v_fma_f64 v[25:26], v[65:66], 2.0, -v[15:16]
	v_fma_f64 v[9:10], v[9:10], 2.0, -v[61:62]
	;; [unrolled: 1-line block ×4, first 2 shown]
	v_add_f64 v[51:52], v[61:62], -v[51:52]
	v_fma_f64 v[27:28], v[27:28], 2.0, -v[49:50]
	v_fma_f64 v[57:58], v[57:58], 2.0, -v[45:46]
	;; [unrolled: 1-line block ×3, first 2 shown]
	v_add_f64 v[71:72], v[11:12], -v[45:46]
	v_add_f64 v[47:48], v[17:18], -v[47:48]
	v_add_f64 v[73:74], v[55:56], v[53:54]
	v_add_f64 v[49:50], v[15:16], v[49:50]
	v_add_f64 v[45:46], v[3:4], -v[27:28]
	v_add_f64 v[53:54], v[25:26], -v[57:58]
	;; [unrolled: 1-line block ×3, first 2 shown]
	v_fma_f64 v[11:12], v[11:12], 2.0, -v[71:72]
	v_add_f64 v[57:58], v[65:66], -v[63:64]
	v_add_f64 v[29:30], v[43:44], -v[29:30]
	;; [unrolled: 1-line block ×3, first 2 shown]
	v_fma_f64 v[59:60], v[61:62], 2.0, -v[51:52]
	v_fma_f64 v[17:18], v[17:18], 2.0, -v[47:48]
	;; [unrolled: 1-line block ×4, first 2 shown]
	v_mul_f64 v[61:62], v[11:12], s[4:5]
	v_fma_f64 v[82:83], v[47:48], s[4:5], v[51:52]
	v_fma_f64 v[84:85], v[73:74], s[4:5], v[13:14]
	v_add_f64 v[86:87], v[27:28], -v[35:36]
	v_add_f64 v[88:89], v[57:58], v[29:30]
	v_fma_f64 v[11:12], v[17:18], s[6:7], v[59:60]
	v_fma_f64 v[78:79], v[39:40], s[6:7], v[76:77]
	v_fma_f64 v[9:10], v[9:10], 2.0, -v[27:28]
	v_fma_f64 v[63:64], v[65:66], 2.0, -v[57:58]
	;; [unrolled: 1-line block ×4, first 2 shown]
	v_mul_f64 v[65:66], v[15:16], s[4:5]
	v_fma_f64 v[29:30], v[47:48], s[4:5], v[84:85]
	v_fma_f64 v[15:16], v[39:40], s[6:7], v[11:12]
	;; [unrolled: 1-line block ×4, first 2 shown]
	v_fma_f64 v[11:12], v[27:28], 2.0, -v[86:87]
	v_fma_f64 v[57:58], v[57:58], 2.0, -v[88:89]
	v_mul_f64 v[67:68], v[71:72], s[4:5]
	v_mul_f64 v[71:72], v[49:50], s[4:5]
	v_add_f64 v[39:40], v[9:10], -v[43:44]
	v_add_f64 v[73:74], v[63:64], -v[55:56]
	v_fma_f64 v[27:28], v[59:60], 2.0, -v[15:16]
	v_fma_f64 v[49:50], v[76:77], 2.0, -v[35:36]
	;; [unrolled: 1-line block ×4, first 2 shown]
	v_mul_f64 v[47:48], v[11:12], s[4:5]
	v_mul_f64 v[57:58], v[57:58], s[4:5]
	;; [unrolled: 1-line block ×4, first 2 shown]
	v_lshlrev_b32_e32 v76, 4, v0
	s_and_saveexec_b64 s[4:5], s[0:1]
	s_cbranch_execz .LBB0_23
; %bb.22:
	v_mul_f64 v[11:12], v[37:38], v[33:34]
	v_fma_f64 v[5:6], v[5:6], 2.0, -v[21:22]
	v_fma_f64 v[3:4], v[3:4], 2.0, -v[45:46]
	s_mov_b32 s7, 0x3fed906b
	s_mov_b32 s6, 0xcf328d46
	;; [unrolled: 1-line block ×5, first 2 shown]
	v_fma_f64 v[11:12], v[1:2], v[31:32], -v[11:12]
	s_mov_b32 s12, s10
	v_fma_f64 v[9:10], v[9:10], 2.0, -v[39:40]
	s_movk_i32 s14, 0x700
	v_and_or_b32 v96, v76, s14, v75
	v_lshl_add_u32 v96, v96, 3, 0
	v_add_f64 v[11:12], v[7:8], -v[11:12]
	v_add_f64 v[13:14], v[11:12], -v[23:24]
	v_fma_f64 v[7:8], v[7:8], 2.0, -v[11:12]
	v_fma_f64 v[11:12], v[11:12], 2.0, -v[13:14]
	v_add_f64 v[77:78], v[13:14], v[67:68]
	v_add_f64 v[5:6], v[7:8], -v[5:6]
	v_add_f64 v[79:80], v[11:12], -v[61:62]
	;; [unrolled: 1-line block ×4, first 2 shown]
	v_fma_f64 v[7:8], v[7:8], 2.0, -v[5:6]
	v_add_f64 v[79:80], v[79:80], -v[65:66]
	v_fma_f64 v[13:14], v[13:14], 2.0, -v[77:78]
	v_fma_f64 v[5:6], v[5:6], 2.0, -v[82:83]
	v_add_f64 v[3:4], v[7:8], -v[3:4]
	v_fma_f64 v[84:85], v[17:18], s[6:7], v[77:78]
	v_add_f64 v[86:87], v[82:83], v[51:52]
	s_mov_b32 s7, 0xbfed906b
	v_fma_f64 v[11:12], v[11:12], 2.0, -v[79:80]
	v_fma_f64 v[88:89], v[43:44], s[10:11], v[13:14]
	v_add_f64 v[90:91], v[5:6], -v[47:48]
	v_fma_f64 v[92:93], v[15:16], s[12:13], v[79:80]
	v_fma_f64 v[7:8], v[7:8], 2.0, -v[3:4]
	v_fma_f64 v[84:85], v[29:30], s[10:11], v[84:85]
	v_add_f64 v[86:87], v[86:87], -v[59:60]
	v_add_f64 v[98:99], v[3:4], -v[73:74]
	v_fma_f64 v[94:95], v[27:28], s[6:7], v[11:12]
	v_fma_f64 v[88:89], v[55:56], s[6:7], v[88:89]
	v_add_f64 v[90:91], v[90:91], -v[57:58]
	v_fma_f64 v[92:93], v[35:36], s[6:7], v[92:93]
	v_add_f64 v[9:10], v[7:8], -v[9:10]
	v_fma_f64 v[77:78], v[77:78], 2.0, -v[84:85]
	v_fma_f64 v[82:83], v[82:83], 2.0, -v[86:87]
	;; [unrolled: 1-line block ×3, first 2 shown]
	v_fma_f64 v[94:95], v[49:50], s[10:11], v[94:95]
	v_fma_f64 v[13:14], v[13:14], 2.0, -v[88:89]
	v_fma_f64 v[5:6], v[5:6], 2.0, -v[90:91]
	;; [unrolled: 1-line block ×5, first 2 shown]
	ds_write2_b64 v96, v[82:83], v[77:78] offset0:96 offset1:112
	ds_write2_b64 v96, v[90:91], v[88:89] offset0:160 offset1:176
	;; [unrolled: 1-line block ×6, first 2 shown]
	ds_write2_b64 v96, v[7:8], v[11:12] offset1:16
	ds_write2_b64 v96, v[86:87], v[84:85] offset0:224 offset1:240
.LBB0_23:
	s_or_b64 exec, exec, s[4:5]
	s_waitcnt lgkmcnt(0)
	s_barrier
	ds_read2st64_b64 v[3:6], v81 offset1:4
	ds_read2st64_b64 v[11:14], v81 offset0:8 offset1:12
	ds_read2st64_b64 v[7:10], v81 offset0:16 offset1:20
	s_waitcnt lgkmcnt(0)
	s_barrier
	s_and_saveexec_b64 s[4:5], s[0:1]
	s_cbranch_execz .LBB0_25
; %bb.24:
	v_mul_f64 v[1:2], v[1:2], v[33:34]
	v_fma_f64 v[23:24], v[41:42], 2.0, -v[23:24]
	v_fma_f64 v[25:26], v[25:26], 2.0, -v[53:54]
	s_mov_b32 s6, 0xa6aea964
	s_mov_b32 s7, 0x3fd87de2
	;; [unrolled: 1-line block ×5, first 2 shown]
	v_fma_f64 v[1:2], v[37:38], v[31:32], v[1:2]
	s_mov_b32 s0, 0xcf328d46
	v_fma_f64 v[37:38], v[63:64], 2.0, -v[73:74]
	s_movk_i32 s12, 0x700
	v_add_f64 v[1:2], v[19:20], -v[1:2]
	v_add_f64 v[21:22], v[1:2], v[21:22]
	v_fma_f64 v[19:20], v[19:20], 2.0, -v[1:2]
	v_fma_f64 v[1:2], v[1:2], 2.0, -v[21:22]
	v_add_f64 v[23:24], v[19:20], -v[23:24]
	v_add_f64 v[31:32], v[21:22], v[71:72]
	v_add_f64 v[33:34], v[1:2], -v[65:66]
	v_add_f64 v[41:42], v[23:24], v[45:46]
	v_add_f64 v[31:32], v[67:68], v[31:32]
	v_fma_f64 v[19:20], v[19:20], 2.0, -v[23:24]
	v_add_f64 v[33:34], v[61:62], v[33:34]
	v_fma_f64 v[23:24], v[23:24], 2.0, -v[41:42]
	v_fma_f64 v[21:22], v[21:22], 2.0, -v[31:32]
	v_add_f64 v[25:26], v[19:20], -v[25:26]
	v_add_f64 v[45:46], v[41:42], v[59:60]
	v_and_or_b32 v61, v76, s12, v75
	v_fma_f64 v[1:2], v[1:2], 2.0, -v[33:34]
	v_add_f64 v[53:54], v[23:24], -v[57:58]
	v_fma_f64 v[55:56], v[55:56], s[10:11], v[21:22]
	v_fma_f64 v[35:36], v[35:36], s[6:7], v[33:34]
	v_fma_f64 v[19:20], v[19:20], 2.0, -v[25:26]
	v_add_f64 v[39:40], v[25:26], v[39:40]
	v_add_f64 v[45:46], v[51:52], v[45:46]
	v_fma_f64 v[49:50], v[49:50], s[0:1], v[1:2]
	s_mov_b32 s1, 0x3fed906b
	v_fma_f64 v[29:30], v[29:30], s[0:1], v[31:32]
	v_add_f64 v[47:48], v[47:48], v[53:54]
	v_fma_f64 v[43:44], v[43:44], s[0:1], v[55:56]
	v_fma_f64 v[15:16], v[15:16], s[0:1], v[35:36]
	v_add_f64 v[37:38], v[19:20], -v[37:38]
	v_fma_f64 v[25:26], v[25:26], 2.0, -v[39:40]
	v_fma_f64 v[27:28], v[27:28], s[6:7], v[49:50]
	v_lshl_add_u32 v35, v61, 3, 0
	v_fma_f64 v[17:18], v[17:18], s[6:7], v[29:30]
	v_fma_f64 v[23:24], v[23:24], 2.0, -v[47:48]
	v_fma_f64 v[21:22], v[21:22], 2.0, -v[43:44]
	;; [unrolled: 1-line block ×7, first 2 shown]
	ds_write2_b64 v35, v[47:48], v[43:44] offset0:160 offset1:176
	ds_write2_b64 v35, v[39:40], v[15:16] offset0:192 offset1:208
	;; [unrolled: 1-line block ×5, first 2 shown]
	ds_write2_b64 v35, v[19:20], v[1:2] offset1:16
	ds_write2_b64 v35, v[29:30], v[31:32] offset0:96 offset1:112
	ds_write2_b64 v35, v[45:46], v[17:18] offset0:224 offset1:240
.LBB0_25:
	s_or_b64 exec, exec, s[4:5]
	s_waitcnt lgkmcnt(0)
	s_barrier
	s_and_saveexec_b64 s[0:1], vcc
	s_cbranch_execz .LBB0_27
; %bb.26:
	v_mul_u32_u24_e32 v0, 5, v0
	v_lshlrev_b32_e32 v0, 4, v0
	global_load_dwordx4 v[15:18], v0, s[8:9] offset:3856
	global_load_dwordx4 v[19:22], v0, s[8:9] offset:3888
	global_load_dwordx4 v[23:26], v0, s[8:9] offset:3840
	global_load_dwordx4 v[27:30], v0, s[8:9] offset:3872
	global_load_dwordx4 v[31:34], v0, s[8:9] offset:3904
	ds_read2st64_b64 v[35:38], v81 offset0:8 offset1:12
	ds_read2st64_b64 v[39:42], v81 offset0:16 offset1:20
	ds_read2st64_b64 v[43:46], v81 offset1:4
	v_lshlrev_b64 v[0:1], 4, v[69:70]
	v_mov_b32_e32 v2, s3
	v_add_co_u32_e32 v65, vcc, s2, v0
	v_addc_co_u32_e32 v66, vcc, v2, v1, vcc
	s_mov_b32 s0, 0xe8584caa
	s_mov_b32 s1, 0x3febb67a
	;; [unrolled: 1-line block ×4, first 2 shown]
	v_lshlrev_b32_e32 v47, 4, v97
	v_or_b32_e32 v49, 0x1000, v47
	v_or_b32_e32 v51, 0x2000, v47
	;; [unrolled: 1-line block ×5, first 2 shown]
	v_add_co_u32_e32 v47, vcc, v65, v47
	v_addc_co_u32_e32 v48, vcc, 0, v66, vcc
	v_add_co_u32_e32 v49, vcc, v65, v49
	v_addc_co_u32_e32 v50, vcc, 0, v66, vcc
	;; [unrolled: 2-line block ×4, first 2 shown]
	s_waitcnt vmcnt(4) lgkmcnt(2)
	v_mul_f64 v[0:1], v[35:36], v[17:18]
	s_waitcnt vmcnt(3) lgkmcnt(1)
	v_mul_f64 v[55:56], v[39:40], v[21:22]
	v_mul_f64 v[17:18], v[11:12], v[17:18]
	;; [unrolled: 1-line block ×3, first 2 shown]
	s_waitcnt vmcnt(1)
	v_mul_f64 v[59:60], v[37:38], v[29:30]
	s_waitcnt vmcnt(0)
	v_mul_f64 v[61:62], v[41:42], v[33:34]
	v_mul_f64 v[29:30], v[13:14], v[29:30]
	;; [unrolled: 1-line block ×3, first 2 shown]
	s_waitcnt lgkmcnt(0)
	v_mul_f64 v[57:58], v[45:46], v[25:26]
	v_mul_f64 v[25:26], v[5:6], v[25:26]
	v_fma_f64 v[0:1], v[11:12], v[15:16], -v[0:1]
	v_fma_f64 v[7:8], v[7:8], v[19:20], -v[55:56]
	v_fma_f64 v[11:12], v[15:16], v[35:36], v[17:18]
	v_fma_f64 v[15:16], v[19:20], v[39:40], v[21:22]
	v_fma_f64 v[13:14], v[13:14], v[27:28], -v[59:60]
	v_fma_f64 v[17:18], v[27:28], v[37:38], v[29:30]
	v_fma_f64 v[19:20], v[31:32], v[41:42], v[33:34]
	v_fma_f64 v[9:10], v[9:10], v[31:32], -v[61:62]
	v_fma_f64 v[5:6], v[5:6], v[23:24], -v[57:58]
	v_fma_f64 v[21:22], v[23:24], v[45:46], v[25:26]
	v_add_f64 v[37:38], v[11:12], v[43:44]
	v_add_f64 v[31:32], v[11:12], v[15:16]
	v_add_f64 v[29:30], v[0:1], -v[7:8]
	v_add_f64 v[11:12], v[11:12], -v[15:16]
	v_add_f64 v[23:24], v[17:18], v[19:20]
	v_add_f64 v[25:26], v[13:14], v[9:10]
	v_add_f64 v[33:34], v[17:18], -v[19:20]
	v_add_f64 v[35:36], v[13:14], -v[9:10]
	v_add_f64 v[17:18], v[21:22], v[17:18]
	v_add_f64 v[15:16], v[37:38], v[15:16]
	v_add_co_u32_e32 v27, vcc, v65, v63
	v_fma_f64 v[21:22], v[23:24], -0.5, v[21:22]
	v_fma_f64 v[23:24], v[25:26], -0.5, v[5:6]
	v_add_f64 v[25:26], v[0:1], v[7:8]
	v_add_f64 v[0:1], v[3:4], v[0:1]
	;; [unrolled: 1-line block ×3, first 2 shown]
	v_fma_f64 v[13:14], v[31:32], -0.5, v[43:44]
	v_add_f64 v[17:18], v[17:18], v[19:20]
	v_addc_co_u32_e32 v28, vcc, 0, v66, vcc
	v_fma_f64 v[31:32], v[35:36], s[0:1], v[21:22]
	v_fma_f64 v[37:38], v[33:34], s[0:1], v[23:24]
	;; [unrolled: 1-line block ×4, first 2 shown]
	v_fma_f64 v[2:3], v[25:26], -0.5, v[3:4]
	v_add_f64 v[19:20], v[0:1], v[7:8]
	v_add_f64 v[4:5], v[5:6], v[9:10]
	v_fma_f64 v[33:34], v[29:30], s[0:1], v[13:14]
	v_mul_f64 v[0:1], v[31:32], -0.5
	v_mul_f64 v[6:7], v[37:38], s[4:5]
	v_mul_f64 v[25:26], v[21:22], s[0:1]
	v_mul_f64 v[8:9], v[23:24], -0.5
	v_fma_f64 v[29:30], v[29:30], s[4:5], v[13:14]
	v_fma_f64 v[39:40], v[11:12], s[0:1], v[2:3]
	;; [unrolled: 1-line block ×3, first 2 shown]
	v_add_f64 v[2:3], v[15:16], -v[17:18]
	v_fma_f64 v[23:24], v[23:24], s[4:5], v[0:1]
	v_fma_f64 v[21:22], v[21:22], 0.5, v[6:7]
	v_fma_f64 v[25:26], v[37:38], 0.5, v[25:26]
	v_fma_f64 v[31:32], v[31:32], s[0:1], v[8:9]
	v_add_f64 v[0:1], v[19:20], -v[4:5]
	v_add_f64 v[6:7], v[15:16], v[17:18]
	v_add_f64 v[4:5], v[19:20], v[4:5]
	v_add_f64 v[10:11], v[33:34], -v[23:24]
	v_add_f64 v[14:15], v[29:30], -v[21:22]
	v_add_f64 v[18:19], v[33:34], v[23:24]
	v_add_f64 v[22:23], v[29:30], v[21:22]
	;; [unrolled: 1-line block ×4, first 2 shown]
	v_add_f64 v[12:13], v[39:40], -v[25:26]
	v_add_f64 v[8:9], v[35:36], -v[31:32]
	v_add_co_u32_e32 v24, vcc, v65, v64
	v_addc_co_u32_e32 v25, vcc, 0, v66, vcc
	global_store_dwordx4 v[47:48], v[4:7], off
	global_store_dwordx4 v[53:54], v[0:3], off
	;; [unrolled: 1-line block ×6, first 2 shown]
.LBB0_27:
	s_endpgm
	.section	.rodata,"a",@progbits
	.p2align	6, 0x0
	.amdhsa_kernel fft_rtc_fwd_len1536_factors_16_16_6_wgs_256_tpt_256_halfLds_dp_ip_CI_unitstride_sbrr_dirReg
		.amdhsa_group_segment_fixed_size 0
		.amdhsa_private_segment_fixed_size 0
		.amdhsa_kernarg_size 88
		.amdhsa_user_sgpr_count 6
		.amdhsa_user_sgpr_private_segment_buffer 1
		.amdhsa_user_sgpr_dispatch_ptr 0
		.amdhsa_user_sgpr_queue_ptr 0
		.amdhsa_user_sgpr_kernarg_segment_ptr 1
		.amdhsa_user_sgpr_dispatch_id 0
		.amdhsa_user_sgpr_flat_scratch_init 0
		.amdhsa_user_sgpr_private_segment_size 0
		.amdhsa_uses_dynamic_stack 0
		.amdhsa_system_sgpr_private_segment_wavefront_offset 0
		.amdhsa_system_sgpr_workgroup_id_x 1
		.amdhsa_system_sgpr_workgroup_id_y 0
		.amdhsa_system_sgpr_workgroup_id_z 0
		.amdhsa_system_sgpr_workgroup_info 0
		.amdhsa_system_vgpr_workitem_id 0
		.amdhsa_next_free_vgpr 132
		.amdhsa_next_free_sgpr 22
		.amdhsa_reserve_vcc 1
		.amdhsa_reserve_flat_scratch 0
		.amdhsa_float_round_mode_32 0
		.amdhsa_float_round_mode_16_64 0
		.amdhsa_float_denorm_mode_32 3
		.amdhsa_float_denorm_mode_16_64 3
		.amdhsa_dx10_clamp 1
		.amdhsa_ieee_mode 1
		.amdhsa_fp16_overflow 0
		.amdhsa_exception_fp_ieee_invalid_op 0
		.amdhsa_exception_fp_denorm_src 0
		.amdhsa_exception_fp_ieee_div_zero 0
		.amdhsa_exception_fp_ieee_overflow 0
		.amdhsa_exception_fp_ieee_underflow 0
		.amdhsa_exception_fp_ieee_inexact 0
		.amdhsa_exception_int_div_zero 0
	.end_amdhsa_kernel
	.text
.Lfunc_end0:
	.size	fft_rtc_fwd_len1536_factors_16_16_6_wgs_256_tpt_256_halfLds_dp_ip_CI_unitstride_sbrr_dirReg, .Lfunc_end0-fft_rtc_fwd_len1536_factors_16_16_6_wgs_256_tpt_256_halfLds_dp_ip_CI_unitstride_sbrr_dirReg
                                        ; -- End function
	.section	.AMDGPU.csdata,"",@progbits
; Kernel info:
; codeLenInByte = 6556
; NumSgprs: 26
; NumVgprs: 132
; ScratchSize: 0
; MemoryBound: 1
; FloatMode: 240
; IeeeMode: 1
; LDSByteSize: 0 bytes/workgroup (compile time only)
; SGPRBlocks: 3
; VGPRBlocks: 32
; NumSGPRsForWavesPerEU: 26
; NumVGPRsForWavesPerEU: 132
; Occupancy: 1
; WaveLimiterHint : 1
; COMPUTE_PGM_RSRC2:SCRATCH_EN: 0
; COMPUTE_PGM_RSRC2:USER_SGPR: 6
; COMPUTE_PGM_RSRC2:TRAP_HANDLER: 0
; COMPUTE_PGM_RSRC2:TGID_X_EN: 1
; COMPUTE_PGM_RSRC2:TGID_Y_EN: 0
; COMPUTE_PGM_RSRC2:TGID_Z_EN: 0
; COMPUTE_PGM_RSRC2:TIDIG_COMP_CNT: 0
	.type	__hip_cuid_ec67ce347b5f2da6,@object ; @__hip_cuid_ec67ce347b5f2da6
	.section	.bss,"aw",@nobits
	.globl	__hip_cuid_ec67ce347b5f2da6
__hip_cuid_ec67ce347b5f2da6:
	.byte	0                               ; 0x0
	.size	__hip_cuid_ec67ce347b5f2da6, 1

	.ident	"AMD clang version 19.0.0git (https://github.com/RadeonOpenCompute/llvm-project roc-6.4.0 25133 c7fe45cf4b819c5991fe208aaa96edf142730f1d)"
	.section	".note.GNU-stack","",@progbits
	.addrsig
	.addrsig_sym __hip_cuid_ec67ce347b5f2da6
	.amdgpu_metadata
---
amdhsa.kernels:
  - .args:
      - .actual_access:  read_only
        .address_space:  global
        .offset:         0
        .size:           8
        .value_kind:     global_buffer
      - .offset:         8
        .size:           8
        .value_kind:     by_value
      - .actual_access:  read_only
        .address_space:  global
        .offset:         16
        .size:           8
        .value_kind:     global_buffer
      - .actual_access:  read_only
        .address_space:  global
        .offset:         24
        .size:           8
        .value_kind:     global_buffer
      - .offset:         32
        .size:           8
        .value_kind:     by_value
      - .actual_access:  read_only
        .address_space:  global
        .offset:         40
        .size:           8
        .value_kind:     global_buffer
      - .actual_access:  read_only
        .address_space:  global
        .offset:         48
        .size:           8
        .value_kind:     global_buffer
      - .offset:         56
        .size:           4
        .value_kind:     by_value
      - .actual_access:  read_only
        .address_space:  global
        .offset:         64
        .size:           8
        .value_kind:     global_buffer
      - .actual_access:  read_only
        .address_space:  global
        .offset:         72
        .size:           8
        .value_kind:     global_buffer
      - .address_space:  global
        .offset:         80
        .size:           8
        .value_kind:     global_buffer
    .group_segment_fixed_size: 0
    .kernarg_segment_align: 8
    .kernarg_segment_size: 88
    .language:       OpenCL C
    .language_version:
      - 2
      - 0
    .max_flat_workgroup_size: 256
    .name:           fft_rtc_fwd_len1536_factors_16_16_6_wgs_256_tpt_256_halfLds_dp_ip_CI_unitstride_sbrr_dirReg
    .private_segment_fixed_size: 0
    .sgpr_count:     26
    .sgpr_spill_count: 0
    .symbol:         fft_rtc_fwd_len1536_factors_16_16_6_wgs_256_tpt_256_halfLds_dp_ip_CI_unitstride_sbrr_dirReg.kd
    .uniform_work_group_size: 1
    .uses_dynamic_stack: false
    .vgpr_count:     132
    .vgpr_spill_count: 0
    .wavefront_size: 64
amdhsa.target:   amdgcn-amd-amdhsa--gfx906
amdhsa.version:
  - 1
  - 2
...

	.end_amdgpu_metadata
